;; amdgpu-corpus repo=ROCm/rocFFT kind=compiled arch=gfx950 opt=O3
	.text
	.amdgcn_target "amdgcn-amd-amdhsa--gfx950"
	.amdhsa_code_object_version 6
	.protected	fft_rtc_back_len110_factors_2_5_11_wgs_198_tpt_11_half_ip_CI_unitstride_sbrr_dirReg ; -- Begin function fft_rtc_back_len110_factors_2_5_11_wgs_198_tpt_11_half_ip_CI_unitstride_sbrr_dirReg
	.globl	fft_rtc_back_len110_factors_2_5_11_wgs_198_tpt_11_half_ip_CI_unitstride_sbrr_dirReg
	.p2align	8
	.type	fft_rtc_back_len110_factors_2_5_11_wgs_198_tpt_11_half_ip_CI_unitstride_sbrr_dirReg,@function
fft_rtc_back_len110_factors_2_5_11_wgs_198_tpt_11_half_ip_CI_unitstride_sbrr_dirReg: ; @fft_rtc_back_len110_factors_2_5_11_wgs_198_tpt_11_half_ip_CI_unitstride_sbrr_dirReg
; %bb.0:
	s_load_dwordx2 s[8:9], s[0:1], 0x50
	s_load_dwordx4 s[4:7], s[0:1], 0x0
	s_load_dwordx2 s[10:11], s[0:1], 0x18
	v_mul_u32_u24_e32 v1, 0x1746, v0
	v_lshrrev_b32_e32 v2, 16, v1
	v_mad_u64_u32 v[4:5], s[2:3], s2, 18, v[2:3]
	v_mov_b32_e32 v6, 0
	v_mov_b32_e32 v5, v6
	s_waitcnt lgkmcnt(0)
	v_cmp_lt_u64_e64 s[2:3], s[6:7], 2
	s_and_b64 vcc, exec, s[2:3]
	v_mov_b64_e32 v[2:3], 0
	v_mov_b64_e32 v[10:11], v[4:5]
	s_cbranch_vccnz .LBB0_8
; %bb.1:
	s_load_dwordx2 s[2:3], s[0:1], 0x10
	s_add_u32 s12, s10, 8
	s_addc_u32 s13, s11, 0
	s_mov_b64 s[14:15], 1
	v_mov_b64_e32 v[2:3], 0
	s_waitcnt lgkmcnt(0)
	s_add_u32 s16, s2, 8
	s_addc_u32 s17, s3, 0
	v_mov_b64_e32 v[8:9], v[4:5]
.LBB0_2:                                ; =>This Inner Loop Header: Depth=1
	s_load_dwordx2 s[18:19], s[16:17], 0x0
                                        ; implicit-def: $vgpr10_vgpr11
	s_waitcnt lgkmcnt(0)
	v_or_b32_e32 v7, s19, v9
	v_cmp_ne_u64_e32 vcc, 0, v[6:7]
	s_and_saveexec_b64 s[2:3], vcc
	s_xor_b64 s[20:21], exec, s[2:3]
	s_cbranch_execz .LBB0_4
; %bb.3:                                ;   in Loop: Header=BB0_2 Depth=1
	v_cvt_f32_u32_e32 v1, s18
	v_cvt_f32_u32_e32 v5, s19
	s_sub_u32 s2, 0, s18
	s_subb_u32 s3, 0, s19
	v_fmac_f32_e32 v1, 0x4f800000, v5
	v_rcp_f32_e32 v1, v1
	s_nop 0
	v_mul_f32_e32 v1, 0x5f7ffffc, v1
	v_mul_f32_e32 v5, 0x2f800000, v1
	v_trunc_f32_e32 v5, v5
	v_fmac_f32_e32 v1, 0xcf800000, v5
	v_cvt_u32_f32_e32 v5, v5
	v_cvt_u32_f32_e32 v1, v1
	v_mul_lo_u32 v7, s2, v5
	v_mul_hi_u32 v10, s2, v1
	v_mul_lo_u32 v11, s3, v1
	v_add_u32_e32 v7, v10, v7
	v_mul_lo_u32 v14, s2, v1
	v_add_u32_e32 v7, v7, v11
	v_mul_hi_u32 v10, v1, v14
	v_mul_hi_u32 v13, v1, v7
	v_mul_lo_u32 v12, v1, v7
	v_mov_b32_e32 v11, v6
	v_lshl_add_u64 v[10:11], v[10:11], 0, v[12:13]
	v_mul_hi_u32 v13, v5, v14
	v_mul_lo_u32 v14, v5, v14
	v_add_co_u32_e32 v10, vcc, v10, v14
	v_mul_hi_u32 v12, v5, v7
	s_nop 0
	v_addc_co_u32_e32 v10, vcc, v11, v13, vcc
	v_mov_b32_e32 v11, v6
	s_nop 0
	v_addc_co_u32_e32 v13, vcc, 0, v12, vcc
	v_mul_lo_u32 v12, v5, v7
	v_lshl_add_u64 v[10:11], v[10:11], 0, v[12:13]
	v_add_co_u32_e32 v1, vcc, v1, v10
	v_mul_hi_u32 v10, s2, v1
	s_nop 0
	v_addc_co_u32_e32 v5, vcc, v5, v11, vcc
	v_mul_lo_u32 v7, s2, v5
	v_add_u32_e32 v7, v10, v7
	v_mul_lo_u32 v10, s3, v1
	v_add_u32_e32 v7, v7, v10
	v_mul_lo_u32 v12, s2, v1
	v_mul_hi_u32 v15, v5, v12
	v_mul_lo_u32 v16, v5, v12
	v_mul_hi_u32 v11, v1, v7
	;; [unrolled: 2-line block ×3, first 2 shown]
	v_mov_b32_e32 v13, v6
	v_lshl_add_u64 v[10:11], v[12:13], 0, v[10:11]
	v_add_co_u32_e32 v10, vcc, v10, v16
	v_mul_hi_u32 v14, v5, v7
	s_nop 0
	v_addc_co_u32_e32 v10, vcc, v11, v15, vcc
	v_mul_lo_u32 v12, v5, v7
	s_nop 0
	v_addc_co_u32_e32 v13, vcc, 0, v14, vcc
	v_mov_b32_e32 v11, v6
	v_lshl_add_u64 v[10:11], v[10:11], 0, v[12:13]
	v_add_co_u32_e32 v1, vcc, v1, v10
	v_mul_hi_u32 v12, v8, v1
	s_nop 0
	v_addc_co_u32_e32 v5, vcc, v5, v11, vcc
	v_mad_u64_u32 v[10:11], s[2:3], v8, v5, 0
	v_mov_b32_e32 v13, v6
	v_lshl_add_u64 v[10:11], v[12:13], 0, v[10:11]
	v_mad_u64_u32 v[14:15], s[2:3], v9, v1, 0
	v_add_co_u32_e32 v1, vcc, v10, v14
	v_mad_u64_u32 v[12:13], s[2:3], v9, v5, 0
	s_nop 0
	v_addc_co_u32_e32 v10, vcc, v11, v15, vcc
	v_mov_b32_e32 v11, v6
	s_nop 0
	v_addc_co_u32_e32 v13, vcc, 0, v13, vcc
	v_lshl_add_u64 v[10:11], v[10:11], 0, v[12:13]
	v_mul_lo_u32 v1, s19, v10
	v_mul_lo_u32 v5, s18, v11
	v_mad_u64_u32 v[12:13], s[2:3], s18, v10, 0
	v_add3_u32 v1, v13, v5, v1
	v_sub_u32_e32 v5, v9, v1
	v_mov_b32_e32 v7, s19
	v_sub_co_u32_e32 v16, vcc, v8, v12
	v_lshl_add_u64 v[14:15], v[10:11], 0, 1
	s_nop 0
	v_subb_co_u32_e64 v5, s[2:3], v5, v7, vcc
	v_subrev_co_u32_e64 v7, s[2:3], s18, v16
	v_subb_co_u32_e32 v1, vcc, v9, v1, vcc
	s_nop 0
	v_subbrev_co_u32_e64 v5, s[2:3], 0, v5, s[2:3]
	v_cmp_le_u32_e64 s[2:3], s19, v5
	v_cmp_le_u32_e32 vcc, s19, v1
	s_nop 0
	v_cndmask_b32_e64 v12, 0, -1, s[2:3]
	v_cmp_le_u32_e64 s[2:3], s18, v7
	s_nop 1
	v_cndmask_b32_e64 v7, 0, -1, s[2:3]
	v_cmp_eq_u32_e64 s[2:3], s19, v5
	s_nop 1
	v_cndmask_b32_e64 v5, v12, v7, s[2:3]
	v_lshl_add_u64 v[12:13], v[10:11], 0, 2
	v_cmp_ne_u32_e64 s[2:3], 0, v5
	v_cndmask_b32_e64 v7, 0, -1, vcc
	v_cmp_le_u32_e32 vcc, s18, v16
	v_cndmask_b32_e64 v5, v15, v13, s[2:3]
	s_nop 0
	v_cndmask_b32_e64 v13, 0, -1, vcc
	v_cmp_eq_u32_e32 vcc, s19, v1
	s_nop 1
	v_cndmask_b32_e32 v1, v7, v13, vcc
	v_cmp_ne_u32_e32 vcc, 0, v1
	v_cndmask_b32_e64 v1, v14, v12, s[2:3]
	s_nop 0
	v_cndmask_b32_e32 v11, v11, v5, vcc
	v_cndmask_b32_e32 v10, v10, v1, vcc
.LBB0_4:                                ;   in Loop: Header=BB0_2 Depth=1
	s_andn2_saveexec_b64 s[2:3], s[20:21]
	s_cbranch_execz .LBB0_6
; %bb.5:                                ;   in Loop: Header=BB0_2 Depth=1
	v_cvt_f32_u32_e32 v1, s18
	s_sub_i32 s20, 0, s18
	v_mov_b32_e32 v11, v6
	v_rcp_iflag_f32_e32 v1, v1
	s_nop 0
	v_mul_f32_e32 v1, 0x4f7ffffe, v1
	v_cvt_u32_f32_e32 v1, v1
	v_mul_lo_u32 v5, s20, v1
	v_mul_hi_u32 v5, v1, v5
	v_add_u32_e32 v1, v1, v5
	v_mul_hi_u32 v1, v8, v1
	v_mul_lo_u32 v5, v1, s18
	v_sub_u32_e32 v5, v8, v5
	v_add_u32_e32 v7, 1, v1
	v_subrev_u32_e32 v10, s18, v5
	v_cmp_le_u32_e32 vcc, s18, v5
	s_nop 1
	v_cndmask_b32_e32 v5, v5, v10, vcc
	v_cndmask_b32_e32 v1, v1, v7, vcc
	v_add_u32_e32 v7, 1, v1
	v_cmp_le_u32_e32 vcc, s18, v5
	s_nop 1
	v_cndmask_b32_e32 v10, v1, v7, vcc
.LBB0_6:                                ;   in Loop: Header=BB0_2 Depth=1
	s_or_b64 exec, exec, s[2:3]
	v_mad_u64_u32 v[12:13], s[2:3], v10, s18, 0
	s_load_dwordx2 s[2:3], s[12:13], 0x0
	s_add_u32 s14, s14, 1
	v_mul_lo_u32 v1, v11, s18
	v_mul_lo_u32 v5, v10, s19
	s_addc_u32 s15, s15, 0
	v_add3_u32 v1, v13, v5, v1
	v_sub_co_u32_e32 v5, vcc, v8, v12
	s_add_u32 s12, s12, 8
	s_nop 0
	v_subb_co_u32_e32 v1, vcc, v9, v1, vcc
	s_addc_u32 s13, s13, 0
	v_mov_b64_e32 v[8:9], s[6:7]
	s_waitcnt lgkmcnt(0)
	v_mul_lo_u32 v1, s2, v1
	v_mul_lo_u32 v7, s3, v5
	v_mad_u64_u32 v[2:3], s[2:3], s2, v5, v[2:3]
	s_add_u32 s16, s16, 8
	v_cmp_ge_u64_e32 vcc, s[14:15], v[8:9]
	v_add3_u32 v3, v7, v3, v1
	s_addc_u32 s17, s17, 0
	s_cbranch_vccnz .LBB0_8
; %bb.7:                                ;   in Loop: Header=BB0_2 Depth=1
	v_mov_b64_e32 v[8:9], v[10:11]
	s_branch .LBB0_2
.LBB0_8:
	s_lshl_b64 s[2:3], s[6:7], 3
	s_add_u32 s2, s10, s2
	s_addc_u32 s3, s11, s3
	s_load_dwordx2 s[6:7], s[2:3], 0x0
	s_load_dwordx2 s[10:11], s[0:1], 0x20
	v_mov_b32_e32 v7, 0
	v_mov_b32_e32 v6, 0
                                        ; implicit-def: $vgpr13
                                        ; implicit-def: $vgpr8
                                        ; implicit-def: $vgpr9
                                        ; implicit-def: $vgpr12
	s_waitcnt lgkmcnt(0)
	v_mad_u64_u32 v[2:3], s[0:1], s6, v10, v[2:3]
	v_mul_lo_u32 v1, s6, v11
	v_mul_lo_u32 v5, s7, v10
	s_mov_b32 s0, 0x1745d175
	v_add3_u32 v3, v5, v3, v1
	v_mul_hi_u32 v1, v0, s0
	v_mul_u32_u24_e32 v1, 11, v1
	v_cmp_gt_u64_e32 vcc, s[10:11], v[10:11]
	v_sub_u32_e32 v0, v0, v1
	v_mov_b32_e32 v10, 0
	v_lshl_add_u64 v[2:3], v[2:3], 2, s[8:9]
	v_mov_b32_e32 v5, 0
	v_mov_b32_e32 v1, 0
                                        ; implicit-def: $vgpr11
	s_and_saveexec_b64 s[0:1], vcc
	s_cbranch_execz .LBB0_10
; %bb.9:
	v_mov_b32_e32 v1, 0
	v_lshl_add_u64 v[14:15], v[0:1], 2, v[2:3]
	global_load_dword v8, v[14:15], off offset:264
	global_load_dword v9, v[14:15], off offset:308
	global_load_dword v10, v[14:15], off
	global_load_dword v7, v[14:15], off offset:44
	global_load_dword v5, v[14:15], off offset:88
	;; [unrolled: 1-line block ×7, first 2 shown]
.LBB0_10:
	s_or_b64 exec, exec, s[0:1]
	s_mov_b32 s0, 0x38e38e39
	v_mul_hi_u32 v14, v4, s0
	v_lshrrev_b32_e32 v14, 2, v14
	v_mul_lo_u32 v14, v14, 18
	v_sub_u32_e32 v4, v4, v14
	v_mul_u32_u24_e32 v4, 0x6e, v4
	v_lshl_add_u32 v14, v4, 2, 0
	s_waitcnt vmcnt(3)
	v_pk_add_f16 v4, v10, v13 neg_lo:[0,1] neg_hi:[0,1]
	v_lshrrev_b32_e32 v13, 16, v10
	v_lshrrev_b32_e32 v16, 16, v4
	v_fma_f16 v13, v13, 2.0, -v16
	v_fma_f16 v10, v10, 2.0, -v4
	v_lshlrev_b32_e32 v13, 16, v13
	v_lshl_add_u32 v15, v0, 3, v14
	v_or_b32_sdwa v10, v13, v10 dst_sel:DWORD dst_unused:UNUSED_PAD src0_sel:DWORD src1_sel:WORD_0
	v_add_u32_e32 v25, 11, v0
	v_pk_add_f16 v8, v7, v8 neg_lo:[0,1] neg_hi:[0,1]
	ds_write2_b32 v15, v10, v4 offset1:1
	v_lshl_add_u32 v4, v25, 3, v14
	v_pk_fma_f16 v7, v7, 2.0, v8 op_sel_hi:[1,0,1] neg_lo:[0,0,1] neg_hi:[0,0,1]
	ds_write2_b32 v4, v7, v8 offset1:1
	v_pk_add_f16 v4, v5, v9 neg_lo:[0,1] neg_hi:[0,1]
	v_and_b32_e32 v26, 1, v25
	v_pk_fma_f16 v5, v5, 2.0, v4 op_sel_hi:[1,0,1] neg_lo:[0,0,1] neg_hi:[0,0,1]
	ds_write2_b32 v15, v5, v4 offset0:44 offset1:45
	s_waitcnt vmcnt(1)
	v_pk_add_f16 v4, v1, v12 neg_lo:[0,1] neg_hi:[0,1]
	v_lshlrev_b32_e32 v8, 4, v26
	v_pk_fma_f16 v1, v1, 2.0, v4 op_sel_hi:[1,0,1] neg_lo:[0,0,1] neg_hi:[0,0,1]
	ds_write2_b32 v15, v1, v4 offset0:66 offset1:67
	s_waitcnt vmcnt(0)
	v_pk_add_f16 v1, v6, v11 neg_lo:[0,1] neg_hi:[0,1]
	s_mov_b32 s1, 0x5040100
	v_pk_fma_f16 v4, v6, 2.0, v1 op_sel_hi:[1,0,1] neg_lo:[0,0,1] neg_hi:[0,0,1]
	ds_write2_b32 v15, v4, v1 offset0:88 offset1:89
	v_and_b32_e32 v1, 1, v0
	v_lshlrev_b32_e32 v4, 4, v1
	s_waitcnt lgkmcnt(0)
	s_barrier
	global_load_dwordx4 v[4:7], v4, s[4:5]
	s_mov_b32 s2, 0x7060302
	global_load_dwordx4 v[10:13], v8, s[4:5]
	v_lshlrev_b32_e32 v8, 2, v0
	v_sub_u32_e32 v15, v15, v8
	v_add_u32_e32 v9, v14, v8
	ds_read2_b32 v[16:17], v15 offset0:11 offset1:22
	ds_read2_b32 v[18:19], v15 offset0:33 offset1:44
	;; [unrolled: 1-line block ×4, first 2 shown]
	ds_read_b32 v8, v15 offset:396
	ds_read_u16 v24, v15 offset:134
	ds_read_b32 v27, v9
	s_waitcnt lgkmcnt(5)
	v_perm_b32 v32, v19, v17, s1
	s_waitcnt lgkmcnt(3)
	v_lshrrev_b32_e32 v30, 16, v22
	v_perm_b32 v34, v23, v21, s1
	v_perm_b32 v33, v19, v17, s2
	;; [unrolled: 1-line block ×3, first 2 shown]
	v_lshrrev_b32_e32 v29, 16, v20
	s_waitcnt lgkmcnt(2)
	v_lshrrev_b32_e32 v31, 16, v8
	s_movk_i32 s6, 0x3b9c
	s_movk_i32 s7, 0x38b4
	;; [unrolled: 1-line block ×3, first 2 shown]
	v_lshrrev_b32_e32 v28, 16, v16
	s_mov_b32 s0, 0xffff
	v_lshrrev_b32_e32 v25, 1, v25
	v_mul_u32_u24_e32 v25, 10, v25
	s_waitcnt lgkmcnt(0)
	s_barrier
	v_or_b32_e32 v25, v25, v26
	s_waitcnt vmcnt(1)
	v_mul_f16_sdwa v36, v4, v17 dst_sel:DWORD dst_unused:UNUSED_PAD src0_sel:WORD_1 src1_sel:WORD_1
	v_mul_f16_sdwa v37, v5, v19 dst_sel:DWORD dst_unused:UNUSED_PAD src0_sel:WORD_1 src1_sel:WORD_1
	v_perm_b32 v39, v5, v4, s2
	v_mul_f16_sdwa v40, v6, v21 dst_sel:DWORD dst_unused:UNUSED_PAD src0_sel:WORD_1 src1_sel:WORD_1
	v_mul_f16_sdwa v41, v7, v23 dst_sel:DWORD dst_unused:UNUSED_PAD src0_sel:WORD_1 src1_sel:WORD_1
	v_perm_b32 v43, v7, v6, s2
	v_perm_b32 v38, v5, v4, s1
	;; [unrolled: 1-line block ×3, first 2 shown]
	s_waitcnt vmcnt(0)
	v_mul_f16_sdwa v44, v24, v10 dst_sel:DWORD dst_unused:UNUSED_PAD src0_sel:DWORD src1_sel:WORD_1
	v_mul_f16_sdwa v45, v10, v18 dst_sel:DWORD dst_unused:UNUSED_PAD src0_sel:WORD_1 src1_sel:DWORD
	v_mul_f16_sdwa v48, v30, v12 dst_sel:DWORD dst_unused:UNUSED_PAD src0_sel:DWORD src1_sel:WORD_1
	v_fma_f16 v36, v4, v17, v36
	v_fma_f16 v37, v5, v19, v37
	v_pk_mul_f16 v4, v39, v32
	v_fma_f16 v21, v6, v21, v40
	v_fma_f16 v23, v7, v23, v41
	v_pk_mul_f16 v5, v43, v34
	v_mul_f16_sdwa v49, v22, v12 dst_sel:DWORD dst_unused:UNUSED_PAD src0_sel:DWORD src1_sel:WORD_1
	v_fma_f16 v17, v10, v18, v44
	v_fma_f16 v10, v24, v10, -v45
	v_fma_f16 v19, v22, v12, v48
	v_pk_fma_f16 v22, v38, v33, v4 neg_lo:[0,0,1] neg_hi:[0,0,1]
	v_pk_fma_f16 v24, v42, v35, v5 neg_lo:[0,0,1] neg_hi:[0,0,1]
	v_sub_f16_e32 v4, v36, v37
	v_sub_f16_e32 v5, v23, v21
	v_add_f16_e32 v32, v4, v5
	v_sub_f16_e32 v4, v37, v36
	v_sub_f16_e32 v5, v21, v23
	v_mul_f16_sdwa v46, v29, v11 dst_sel:DWORD dst_unused:UNUSED_PAD src0_sel:DWORD src1_sel:WORD_1
	v_add_f16_e32 v34, v4, v5
	v_sub_f16_sdwa v4, v24, v24 dst_sel:DWORD dst_unused:UNUSED_PAD src0_sel:WORD_1 src1_sel:DWORD
	v_sub_f16_sdwa v5, v22, v22 dst_sel:DWORD dst_unused:UNUSED_PAD src0_sel:DWORD src1_sel:WORD_1
	v_mul_f16_sdwa v50, v31, v13 dst_sel:DWORD dst_unused:UNUSED_PAD src0_sel:DWORD src1_sel:WORD_1
	v_mul_f16_sdwa v51, v8, v13 dst_sel:DWORD dst_unused:UNUSED_PAD src0_sel:DWORD src1_sel:WORD_1
	v_fma_f16 v18, v20, v11, v46
	v_add_f16_e32 v40, v5, v4
	v_sub_f16_sdwa v4, v24, v24 dst_sel:DWORD dst_unused:UNUSED_PAD src0_sel:DWORD src1_sel:WORD_1
	v_sub_f16_sdwa v5, v22, v22 dst_sel:DWORD dst_unused:UNUSED_PAD src0_sel:WORD_1 src1_sel:DWORD
	v_mul_f16_sdwa v47, v20, v11 dst_sel:DWORD dst_unused:UNUSED_PAD src0_sel:DWORD src1_sel:WORD_1
	v_fma_f16 v20, v8, v13, v50
	v_fma_f16 v13, v31, v13, -v51
	v_add_f16_e32 v42, v5, v4
	v_add_f16_e32 v5, v18, v19
	v_fma_f16 v11, v29, v11, -v47
	v_fma_f16 v12, v30, v12, -v49
	v_fma_f16 v6, v5, -0.5, v16
	v_sub_f16_e32 v7, v10, v13
	s_mov_b32 s1, 0xbb9c
	v_fma_f16 v5, v7, s1, v6
	v_sub_f16_e32 v43, v11, v12
	s_mov_b32 s2, 0xb8b4
	v_sub_f16_e32 v8, v17, v18
	v_sub_f16_e32 v44, v20, v19
	v_fma_f16 v6, v7, s6, v6
	v_fma_f16 v5, v43, s2, v5
	v_add_f16_e32 v8, v8, v44
	v_fma_f16 v6, v43, s7, v6
	v_fma_f16 v5, v8, s3, v5
	v_fma_f16 v8, v8, s3, v6
	v_add_f16_e32 v6, v17, v20
	v_add_f16_e32 v4, v16, v17
	v_fma_f16 v16, v6, -0.5, v16
	v_fma_f16 v6, v43, s6, v16
	v_sub_f16_e32 v44, v18, v17
	v_sub_f16_e32 v45, v19, v20
	v_fma_f16 v16, v43, s1, v16
	v_add_f16_e32 v4, v4, v18
	v_fma_f16 v6, v7, s2, v6
	v_add_f16_e32 v44, v44, v45
	;; [unrolled: 2-line block ×3, first 2 shown]
	v_add_f16_e32 v4, v4, v19
	v_fma_f16 v6, v44, s3, v6
	v_fma_f16 v7, v44, s3, v7
	v_fma_f16 v43, v43, -0.5, v28
	v_sub_f16_e32 v44, v17, v20
	v_add_f16_e32 v4, v4, v20
	v_fma_f16 v17, v44, s6, v43
	v_sub_f16_e32 v18, v18, v19
	v_sub_f16_e32 v19, v10, v11
	;; [unrolled: 1-line block ×3, first 2 shown]
	v_fma_f16 v17, v18, s7, v17
	v_add_f16_e32 v20, v19, v20
	v_fma_f16 v19, v20, s3, v17
	v_fma_f16 v17, v44, s1, v43
	;; [unrolled: 1-line block ×3, first 2 shown]
	v_add_f16_e32 v16, v28, v10
	v_fma_f16 v17, v20, s3, v17
	v_add_f16_e32 v20, v10, v13
	v_add_f16_e32 v16, v16, v11
	v_fma_f16 v28, v20, -0.5, v28
	v_sub_f16_e32 v10, v11, v10
	v_sub_f16_e32 v11, v12, v13
	v_fma_f16 v20, v18, s1, v28
	v_add_f16_e32 v10, v10, v11
	v_fma_f16 v11, v18, s6, v28
	v_fma_f16 v20, v44, s7, v20
	;; [unrolled: 1-line block ×5, first 2 shown]
	v_lshrrev_b32_e32 v10, 1, v0
	v_mul_u32_u24_e32 v10, 10, v10
	v_add_f16_e32 v29, v37, v21
	v_or_b32_e32 v1, v10, v1
	v_sub_f16_sdwa v30, v22, v24 dst_sel:DWORD dst_unused:UNUSED_PAD src0_sel:DWORD src1_sel:WORD_1
	v_lshl_add_u32 v28, v1, 2, v14
	v_fma_f16 v1, v29, -0.5, v27
	v_sub_f16_sdwa v31, v22, v24 dst_sel:DWORD dst_unused:UNUSED_PAD src0_sel:WORD_1 src1_sel:DWORD
	v_fma_f16 v10, v30, s1, v1
	v_fma_f16 v1, v30, s6, v1
	v_add_f16_e32 v33, v36, v23
	v_add_f16_e32 v16, v16, v12
	v_fma_f16 v1, v31, s7, v1
	v_add_f16_e32 v16, v16, v13
	v_fma_f16 v13, v32, s3, v1
	v_fma_f16 v1, v33, -0.5, v27
	v_fma_f16 v11, v31, s6, v1
	v_fma_f16 v1, v31, s1, v1
	;; [unrolled: 1-line block ×4, first 2 shown]
	v_pack_b32_f16 v1, v36, v22
	v_add_f16_sdwa v35, v22, v24 dst_sel:DWORD dst_unused:UNUSED_PAD src0_sel:WORD_1 src1_sel:DWORD
	v_add_f16_sdwa v41, v22, v24 dst_sel:DWORD dst_unused:UNUSED_PAD src0_sel:DWORD src1_sel:WORD_1
	v_pk_add_f16 v1, v27, v1
	v_bfi_b32 v22, s0, v37, v22
	v_sub_f16_e32 v39, v37, v21
	v_pk_add_f16 v1, v1, v22
	v_pack_b32_f16 v21, v21, v24
	v_sub_f16_e32 v38, v36, v23
	v_pk_add_f16 v1, v1, v21
	v_bfi_b32 v21, s0, v23, v24
	v_lshrrev_b32_e32 v23, 16, v27
	v_pk_add_f16 v1, v1, v21
	v_fma_f16 v21, v35, -0.5, v23
	v_fma_f16 v22, v38, s6, v21
	v_fma_f16 v24, v41, -0.5, v23
	v_fma_f16 v10, v31, s2, v10
	v_fma_f16 v22, v39, s7, v22
	;; [unrolled: 1-line block ×14, first 2 shown]
	v_pack_b32_f16 v27, v10, v22
	v_fma_f16 v21, v40, s3, v21
	ds_write2_b32 v28, v1, v27 offset1:2
	v_pack_b32_f16 v27, v11, v23
	v_pack_b32_f16 v29, v12, v24
	ds_write2_b32 v28, v27, v29 offset0:4 offset1:6
	v_pack_b32_f16 v27, v13, v21
	v_lshl_add_u32 v14, v25, 2, v14
	v_pack_b32_f16 v25, v4, v16
	v_pack_b32_f16 v26, v5, v19
	ds_write_b32 v28, v27 offset:32
	ds_write2_b32 v14, v25, v26 offset1:2
	v_pack_b32_f16 v25, v6, v20
	v_pack_b32_f16 v26, v7, v18
	ds_write2_b32 v14, v25, v26 offset0:4 offset1:6
	v_pack_b32_f16 v25, v8, v17
	ds_write_b32 v14, v25 offset:32
	v_cmp_gt_u32_e64 s[0:1], 10, v0
	v_lshrrev_b32_e32 v14, 16, v1
	s_waitcnt lgkmcnt(0)
	s_barrier
	s_waitcnt lgkmcnt(0)
                                        ; implicit-def: $vgpr25
	s_and_saveexec_b64 s[2:3], s[0:1]
	s_cbranch_execnz .LBB0_13
; %bb.11:
	s_or_b64 exec, exec, s[2:3]
	s_and_b64 s[0:1], vcc, s[0:1]
	s_and_saveexec_b64 s[2:3], s[0:1]
	s_cbranch_execnz .LBB0_14
.LBB0_12:
	s_endpgm
.LBB0_13:
	ds_read_b32 v1, v9
	ds_read2_b32 v[10:11], v15 offset0:10 offset1:20
	ds_read2_b32 v[6:7], v15 offset0:70 offset1:80
	;; [unrolled: 1-line block ×5, first 2 shown]
	s_waitcnt lgkmcnt(5)
	v_lshrrev_b32_e32 v14, 16, v1
	s_waitcnt lgkmcnt(3)
	v_lshrrev_b32_e32 v18, 16, v7
	;; [unrolled: 2-line block ×3, first 2 shown]
	v_lshrrev_b32_e32 v25, 16, v9
	v_lshrrev_b32_e32 v22, 16, v10
	;; [unrolled: 1-line block ×3, first 2 shown]
	s_waitcnt lgkmcnt(1)
	v_lshrrev_b32_e32 v24, 16, v12
	v_lshrrev_b32_e32 v21, 16, v13
	s_waitcnt lgkmcnt(0)
	v_lshrrev_b32_e32 v16, 16, v4
	v_lshrrev_b32_e32 v19, 16, v5
	;; [unrolled: 1-line block ×3, first 2 shown]
	s_or_b64 exec, exec, s[2:3]
	s_and_b64 s[0:1], vcc, s[0:1]
	s_and_saveexec_b64 s[2:3], s[0:1]
	s_cbranch_execz .LBB0_12
.LBB0_14:
	v_mul_u32_u24_e32 v15, 10, v0
	v_lshlrev_b32_e32 v15, 2, v15
	global_load_dwordx4 v[26:29], v15, s[4:5] offset:32
	global_load_dwordx2 v[34:35], v15, s[4:5] offset:64
	global_load_dwordx4 v[30:33], v15, s[4:5] offset:48
	s_movk_i32 s1, 0x36a6
	s_mov_b32 s0, 0xb93d
	s_mov_b32 s2, 0xbbad
	;; [unrolled: 1-line block ×3, first 2 shown]
	s_movk_i32 s4, 0x3abb
	s_movk_i32 s5, 0x3853
	;; [unrolled: 1-line block ×3, first 2 shown]
	s_mov_b32 s8, 0xb853
	s_mov_b32 s7, 0xbbeb
	;; [unrolled: 1-line block ×3, first 2 shown]
	s_waitcnt vmcnt(2)
	v_mul_f16_sdwa v15, v22, v26 dst_sel:DWORD dst_unused:UNUSED_PAD src0_sel:DWORD src1_sel:WORD_1
	s_waitcnt vmcnt(1)
	v_mul_f16_sdwa v36, v25, v35 dst_sel:DWORD dst_unused:UNUSED_PAD src0_sel:DWORD src1_sel:WORD_1
	v_mul_f16_sdwa v37, v9, v35 dst_sel:DWORD dst_unused:UNUSED_PAD src0_sel:DWORD src1_sel:WORD_1
	v_mul_f16_sdwa v38, v10, v26 dst_sel:DWORD dst_unused:UNUSED_PAD src0_sel:DWORD src1_sel:WORD_1
	v_mul_f16_sdwa v39, v23, v27 dst_sel:DWORD dst_unused:UNUSED_PAD src0_sel:DWORD src1_sel:WORD_1
	v_mul_f16_sdwa v40, v17, v34 dst_sel:DWORD dst_unused:UNUSED_PAD src0_sel:DWORD src1_sel:WORD_1
	v_fma_f16 v10, v10, v26, v15
	v_fma_f16 v9, v9, v35, v36
	v_mul_f16_sdwa v41, v8, v34 dst_sel:DWORD dst_unused:UNUSED_PAD src0_sel:DWORD src1_sel:WORD_1
	v_mul_f16_sdwa v42, v11, v27 dst_sel:DWORD dst_unused:UNUSED_PAD src0_sel:DWORD src1_sel:WORD_1
	;; [unrolled: 1-line block ×3, first 2 shown]
	s_waitcnt vmcnt(0)
	v_mul_f16_sdwa v44, v18, v33 dst_sel:DWORD dst_unused:UNUSED_PAD src0_sel:DWORD src1_sel:WORD_1
	v_fma_f16 v15, v25, v35, -v37
	v_fma_f16 v22, v22, v26, -v38
	v_fma_f16 v11, v11, v27, v39
	v_fma_f16 v8, v8, v34, v40
	v_sub_f16_e32 v25, v10, v9
	v_mul_f16_sdwa v45, v7, v33 dst_sel:DWORD dst_unused:UNUSED_PAD src0_sel:DWORD src1_sel:WORD_1
	v_mul_f16_sdwa v46, v12, v28 dst_sel:DWORD dst_unused:UNUSED_PAD src0_sel:DWORD src1_sel:WORD_1
	v_mul_f16_sdwa v47, v21, v29 dst_sel:DWORD dst_unused:UNUSED_PAD src0_sel:DWORD src1_sel:WORD_1
	v_mul_f16_sdwa v48, v20, v32 dst_sel:DWORD dst_unused:UNUSED_PAD src0_sel:DWORD src1_sel:WORD_1
	v_mul_f16_sdwa v50, v13, v29 dst_sel:DWORD dst_unused:UNUSED_PAD src0_sel:DWORD src1_sel:WORD_1
	v_mul_f16_sdwa v51, v16, v30 dst_sel:DWORD dst_unused:UNUSED_PAD src0_sel:DWORD src1_sel:WORD_1
	v_fma_f16 v17, v17, v34, -v41
	v_fma_f16 v23, v23, v27, -v42
	v_fma_f16 v12, v12, v28, v43
	v_fma_f16 v7, v7, v33, v44
	v_add_f16_e32 v26, v22, v15
	v_sub_f16_e32 v27, v11, v8
	v_mul_f16_e32 v43, 0xbb47, v25
	v_mul_f16_sdwa v49, v6, v32 dst_sel:DWORD dst_unused:UNUSED_PAD src0_sel:DWORD src1_sel:WORD_1
	v_mul_f16_sdwa v52, v19, v31 dst_sel:DWORD dst_unused:UNUSED_PAD src0_sel:DWORD src1_sel:WORD_1
	;; [unrolled: 1-line block ×4, first 2 shown]
	v_fma_f16 v18, v18, v33, -v45
	v_fma_f16 v24, v24, v28, -v46
	v_fma_f16 v13, v13, v29, v47
	v_fma_f16 v6, v6, v32, v48
	v_fma_f16 v21, v21, v29, -v50
	v_fma_f16 v4, v4, v30, v51
	v_add_f16_e32 v28, v23, v17
	v_sub_f16_e32 v29, v12, v7
	v_sub_f16_e32 v36, v22, v15
	v_mul_f16_e32 v44, 0xba0c, v27
	v_fma_f16 v51, v26, s1, v43
	v_fma_f16 v20, v20, v32, -v49
	v_fma_f16 v5, v5, v31, v52
	v_fma_f16 v19, v19, v31, -v53
	v_fma_f16 v16, v16, v30, -v54
	v_add_f16_e32 v30, v24, v18
	v_sub_f16_e32 v31, v13, v6
	v_add_f16_e32 v35, v10, v9
	v_sub_f16_e32 v38, v23, v17
	v_mul_f16_e32 v45, 0x3482, v29
	v_mul_f16_e32 v48, 0xbb47, v36
	v_fma_f16 v52, v28, s0, v44
	v_add_f16_e32 v51, v14, v51
	v_add_f16_e32 v32, v21, v20
	v_sub_f16_e32 v33, v4, v5
	v_add_f16_e32 v37, v11, v8
	v_sub_f16_e32 v40, v24, v18
	v_mul_f16_e32 v46, 0x3beb, v31
	v_mul_f16_e32 v49, 0xba0c, v38
	v_fma_f16 v53, v30, s2, v45
	v_fma_f16 v56, v35, s1, -v48
	v_add_f16_e32 v51, v51, v52
	v_add_f16_e32 v34, v16, v19
	;; [unrolled: 1-line block ×3, first 2 shown]
	v_sub_f16_e32 v42, v21, v20
	v_mul_f16_e32 v47, 0x3853, v33
	v_mul_f16_e32 v50, 0x3482, v40
	v_fma_f16 v54, v32, s3, v46
	v_fma_f16 v57, v37, s0, -v49
	v_add_f16_e32 v56, v1, v56
	v_add_f16_e32 v51, v51, v53
	;; [unrolled: 1-line block ×3, first 2 shown]
	v_fma_f16 v55, v34, s4, v47
	v_fma_f16 v58, v39, s2, -v50
	v_add_f16_e32 v52, v56, v57
	v_add_f16_e32 v51, v51, v54
	v_mul_f16_e32 v53, 0x3beb, v42
	v_add_f16_e32 v52, v52, v58
	v_add_f16_e32 v51, v51, v55
	v_fma_f16 v54, v41, s3, -v53
	v_sub_f16_e32 v55, v16, v19
	v_add_f16_e32 v52, v52, v54
	v_add_f16_e32 v54, v4, v5
	v_mul_f16_e32 v56, 0x3853, v55
	v_fma_f16 v57, v54, s4, -v56
	v_add_f16_e32 v52, v52, v57
	v_mul_f16_e32 v57, 0xbbeb, v25
	v_fma_f16 v58, v26, s3, v57
	v_mul_f16_e32 v59, 0x3482, v27
	v_add_f16_e32 v58, v14, v58
	v_fma_f16 v60, v28, s2, v59
	v_add_f16_e32 v58, v58, v60
	v_mul_f16_e32 v60, 0x3b47, v29
	v_fma_f16 v61, v30, s1, v60
	v_add_f16_e32 v58, v58, v61
	v_mul_f16_e32 v61, 0xb853, v31
	;; [unrolled: 3-line block ×4, first 2 shown]
	v_fma_f16 v64, v35, s3, -v63
	v_mul_f16_e32 v65, 0x3482, v38
	v_add_f16_e32 v64, v1, v64
	v_fma_f16 v66, v37, s2, -v65
	v_add_f16_e32 v64, v64, v66
	v_mul_f16_e32 v66, 0x3b47, v40
	v_fma_f16 v67, v39, s1, -v66
	v_add_f16_e32 v64, v64, v67
	v_mul_f16_e32 v67, 0xb853, v42
	;; [unrolled: 3-line block ×4, first 2 shown]
	v_fma_f16 v70, v26, s0, v69
	v_mul_f16_e32 v71, 0x3beb, v27
	v_add_f16_e32 v70, v14, v70
	v_fma_f16 v72, v28, s3, v71
	v_add_f16_e32 v70, v70, v72
	v_mul_f16_e32 v72, 0xb853, v29
	v_fma_f16 v73, v30, s4, v72
	v_add_f16_e32 v70, v70, v73
	v_mul_f16_e32 v73, 0xb482, v31
	;; [unrolled: 3-line block ×4, first 2 shown]
	v_fma_f16 v76, v35, s0, -v75
	v_mul_f16_e32 v77, 0x3beb, v38
	v_add_f16_e32 v76, v1, v76
	v_fma_f16 v78, v37, s3, -v77
	v_add_f16_e32 v76, v76, v78
	v_mul_f16_e32 v78, 0xb853, v40
	v_fma_f16 v79, v39, s4, -v78
	v_fma_f16 v43, v26, s1, -v43
	v_add_f16_e32 v76, v76, v79
	v_mul_f16_e32 v79, 0xb482, v42
	v_add_f16_e32 v43, v14, v43
	v_fma_f16 v44, v28, s0, -v44
	v_fma_f16 v80, v41, s2, -v79
	v_add_f16_e32 v43, v43, v44
	v_fma_f16 v44, v30, s2, -v45
	v_add_f16_e32 v76, v76, v80
	v_mul_f16_e32 v80, 0x3b47, v55
	v_add_f16_e32 v43, v43, v44
	v_fma_f16 v44, v32, s3, -v46
	v_fma_f16 v81, v54, s1, -v80
	v_add_f16_e32 v43, v43, v44
	v_fma_f16 v44, v34, s4, -v47
	v_add_f16_e32 v76, v76, v81
	v_mul_f16_e32 v81, 0xb482, v25
	v_add_f16_e32 v43, v43, v44
	v_fma_f16 v44, v35, s1, v48
	v_fma_f16 v82, v26, s2, v81
	v_mul_f16_e32 v83, 0x3853, v27
	v_add_f16_e32 v44, v1, v44
	v_fma_f16 v45, v37, s0, v49
	v_add_f16_e32 v82, v14, v82
	v_fma_f16 v84, v28, s4, v83
	;; [unrolled: 2-line block ×3, first 2 shown]
	v_add_f16_e32 v82, v82, v84
	v_mul_f16_e32 v84, 0xba0c, v29
	v_add_f16_e32 v44, v44, v45
	v_fma_f16 v45, v41, s3, v53
	v_add_f16_e32 v10, v1, v10
	v_fma_f16 v85, v30, s0, v84
	v_fma_f16 v81, v26, s2, -v81
	v_fma_f16 v69, v26, s0, -v69
	;; [unrolled: 1-line block ×3, first 2 shown]
	v_add_f16_e32 v44, v44, v45
	v_fma_f16 v45, v54, s4, v56
	v_mul_f16_e32 v26, 0x3abb, v26
	v_add_f16_e32 v10, v10, v11
	v_add_f16_e32 v82, v82, v85
	v_mul_f16_e32 v85, 0x3b47, v31
	v_add_f16_e32 v81, v14, v81
	v_fma_f16 v83, v28, s4, -v83
	v_add_f16_e32 v69, v14, v69
	v_fma_f16 v71, v28, s3, -v71
	;; [unrolled: 2-line block ×3, first 2 shown]
	v_add_f16_e32 v44, v44, v45
	v_fma_f16 v45, v25, s5, v26
	v_mul_f16_e32 v28, 0x36a6, v28
	v_add_f16_e32 v10, v10, v12
	v_fma_f16 v86, v32, s1, v85
	v_add_f16_e32 v81, v81, v83
	v_fma_f16 v83, v30, s0, -v84
	v_add_f16_e32 v69, v69, v71
	v_fma_f16 v71, v30, s4, -v72
	;; [unrolled: 2-line block ×3, first 2 shown]
	v_add_f16_e32 v45, v14, v45
	v_fma_f16 v46, v27, s6, v28
	s_movk_i32 s5, 0x3beb
	v_mul_f16_e32 v30, 0xb08e, v30
	v_add_f16_e32 v10, v10, v13
	v_add_f16_e32 v82, v82, v86
	v_mul_f16_e32 v86, 0xbbeb, v33
	v_add_f16_e32 v81, v81, v83
	v_fma_f16 v83, v32, s1, -v85
	v_add_f16_e32 v69, v69, v71
	v_fma_f16 v71, v32, s2, -v73
	;; [unrolled: 2-line block ×3, first 2 shown]
	v_add_f16_e32 v45, v45, v46
	v_fma_f16 v46, v29, s5, v30
	v_mul_f16_e32 v32, 0xb93d, v32
	s_movk_i32 s5, 0x3a0c
	v_add_f16_e32 v4, v10, v4
	v_fma_f16 v87, v34, s3, v86
	v_add_f16_e32 v81, v81, v83
	v_fma_f16 v83, v34, s3, -v86
	v_add_f16_e32 v69, v69, v71
	v_fma_f16 v71, v34, s1, -v74
	;; [unrolled: 2-line block ×3, first 2 shown]
	v_add_f16_e32 v45, v45, v46
	v_fma_f16 v46, v31, s5, v32
	s_movk_i32 s5, 0x3482
	v_mul_f16_e32 v34, 0xbbad, v34
	v_add_f16_e32 v4, v4, v5
	v_add_f16_e32 v45, v45, v46
	v_fma_f16 v46, v33, s5, v34
	s_mov_b32 s5, 0xbb47
	v_add_f16_e32 v4, v6, v4
	v_fma_f16 v6, v25, s8, v26
	v_add_f16_e32 v82, v82, v87
	v_mul_f16_e32 v87, 0xb482, v36
	v_add_f16_e32 v4, v7, v4
	v_add_f16_e32 v5, v14, v22
	;; [unrolled: 1-line block ×3, first 2 shown]
	v_fma_f16 v7, v27, s5, v28
	v_fma_f16 v88, v35, s2, -v87
	v_mul_f16_e32 v89, 0x3853, v38
	s_mov_b32 s6, 0xba0c
	v_add_f16_e32 v5, v5, v23
	v_add_f16_e32 v6, v6, v7
	v_fma_f16 v7, v29, s7, v30
	v_add_f16_e32 v88, v1, v88
	v_fma_f16 v90, v37, s4, -v89
	v_mul_f16_e32 v36, 0xb853, v36
	v_add_f16_e32 v5, v5, v24
	v_add_f16_e32 v6, v6, v7
	v_fma_f16 v7, v31, s6, v32
	v_add_f16_e32 v88, v88, v90
	v_mul_f16_e32 v90, 0xba0c, v40
	v_add_f16_e32 v45, v45, v46
	v_fma_f16 v46, v35, s4, v36
	v_mul_f16_e32 v38, 0xbb47, v38
	v_add_f16_e32 v5, v5, v21
	v_add_f16_e32 v6, v6, v7
	v_fma_f16 v7, v33, s9, v34
	v_fma_f16 v91, v39, s0, -v90
	v_add_f16_e32 v81, v81, v83
	v_fma_f16 v83, v35, s2, v87
	v_add_f16_e32 v69, v69, v71
	v_fma_f16 v71, v35, s0, v75
	v_add_f16_e32 v57, v57, v59
	v_fma_f16 v59, v35, s3, v63
	v_add_f16_e32 v46, v1, v46
	v_fma_f16 v47, v37, s1, v38
	v_mul_f16_e32 v40, 0xbbeb, v40
	v_add_f16_e32 v5, v5, v16
	v_add_f16_e32 v6, v6, v7
	v_fma_f16 v7, v35, s4, -v36
	v_add_f16_e32 v88, v88, v91
	v_mul_f16_e32 v91, 0x3b47, v42
	v_add_f16_e32 v83, v1, v83
	v_add_f16_e32 v71, v1, v71
	;; [unrolled: 1-line block ×4, first 2 shown]
	v_fma_f16 v47, v39, s3, v40
	v_mul_f16_e32 v42, 0xba0c, v42
	v_add_f16_e32 v5, v5, v19
	v_add_f16_e32 v1, v1, v7
	v_fma_f16 v7, v37, s1, -v38
	v_add_f16_e32 v46, v46, v47
	v_fma_f16 v47, v41, s0, v42
	v_add_f16_e32 v5, v20, v5
	v_add_f16_e32 v1, v1, v7
	v_fma_f16 v7, v39, s3, -v40
	v_add_f16_e32 v46, v46, v47
	v_mul_f16_e32 v47, 0xb482, v55
	v_add_f16_e32 v5, v18, v5
	v_add_f16_e32 v1, v1, v7
	v_fma_f16 v7, v41, s0, -v42
	v_fma_f16 v60, v37, s2, v65
	v_add_f16_e32 v4, v8, v4
	v_add_f16_e32 v5, v17, v5
	;; [unrolled: 1-line block ×3, first 2 shown]
	v_fma_f16 v7, v54, s2, -v47
	v_fma_f16 v72, v37, s3, v77
	v_add_f16_e32 v59, v59, v60
	v_fma_f16 v60, v39, s1, v66
	v_fma_f16 v48, v54, s2, v47
	v_add_f16_e32 v4, v9, v4
	v_add_f16_e32 v5, v15, v5
	;; [unrolled: 1-line block ×3, first 2 shown]
	v_mov_b32_e32 v1, 0
	v_fma_f16 v84, v37, s4, v89
	v_add_f16_e32 v71, v71, v72
	v_fma_f16 v72, v39, s4, v78
	v_add_f16_e32 v59, v59, v60
	;; [unrolled: 2-line block ×3, first 2 shown]
	v_lshl_add_u64 v[0:1], v[0:1], 2, v[2:3]
	v_pack_b32_f16 v2, v4, v5
	v_fma_f16 v92, v41, s1, -v91
	v_add_f16_e32 v83, v83, v84
	v_fma_f16 v84, v39, s0, v90
	v_add_f16_e32 v71, v71, v72
	v_fma_f16 v72, v41, s2, v79
	;; [unrolled: 2-line block ×3, first 2 shown]
	global_store_dword v[0:1], v2, off
	v_pack_b32_f16 v2, v46, v45
	v_add_f16_e32 v88, v88, v92
	v_mul_f16_e32 v92, 0xbbeb, v55
	v_add_f16_e32 v83, v83, v84
	v_fma_f16 v84, v41, s1, v91
	v_add_f16_e32 v71, v71, v72
	v_fma_f16 v72, v54, s1, v80
	v_add_f16_e32 v59, v59, v60
	global_store_dword v[0:1], v2, off offset:40
	v_pack_b32_f16 v2, v44, v43
	v_add_f16_e32 v83, v83, v84
	v_fma_f16 v84, v54, s3, v92
	v_add_f16_e32 v71, v71, v72
	global_store_dword v[0:1], v2, off offset:80
	v_pack_b32_f16 v2, v59, v57
	v_fma_f16 v93, v54, s3, -v92
	v_add_f16_e32 v83, v83, v84
	global_store_dword v[0:1], v2, off offset:120
	v_pack_b32_f16 v2, v71, v69
	v_add_f16_e32 v88, v88, v93
	global_store_dword v[0:1], v2, off offset:160
	v_pack_b32_f16 v2, v83, v81
	global_store_dword v[0:1], v2, off offset:200
	v_pack_b32_f16 v2, v88, v82
	;; [unrolled: 2-line block ×6, first 2 shown]
	global_store_dword v[0:1], v2, off offset:400
	s_endpgm
	.section	.rodata,"a",@progbits
	.p2align	6, 0x0
	.amdhsa_kernel fft_rtc_back_len110_factors_2_5_11_wgs_198_tpt_11_half_ip_CI_unitstride_sbrr_dirReg
		.amdhsa_group_segment_fixed_size 0
		.amdhsa_private_segment_fixed_size 0
		.amdhsa_kernarg_size 88
		.amdhsa_user_sgpr_count 2
		.amdhsa_user_sgpr_dispatch_ptr 0
		.amdhsa_user_sgpr_queue_ptr 0
		.amdhsa_user_sgpr_kernarg_segment_ptr 1
		.amdhsa_user_sgpr_dispatch_id 0
		.amdhsa_user_sgpr_kernarg_preload_length 0
		.amdhsa_user_sgpr_kernarg_preload_offset 0
		.amdhsa_user_sgpr_private_segment_size 0
		.amdhsa_uses_dynamic_stack 0
		.amdhsa_enable_private_segment 0
		.amdhsa_system_sgpr_workgroup_id_x 1
		.amdhsa_system_sgpr_workgroup_id_y 0
		.amdhsa_system_sgpr_workgroup_id_z 0
		.amdhsa_system_sgpr_workgroup_info 0
		.amdhsa_system_vgpr_workitem_id 0
		.amdhsa_next_free_vgpr 94
		.amdhsa_next_free_sgpr 22
		.amdhsa_accum_offset 96
		.amdhsa_reserve_vcc 1
		.amdhsa_float_round_mode_32 0
		.amdhsa_float_round_mode_16_64 0
		.amdhsa_float_denorm_mode_32 3
		.amdhsa_float_denorm_mode_16_64 3
		.amdhsa_dx10_clamp 1
		.amdhsa_ieee_mode 1
		.amdhsa_fp16_overflow 0
		.amdhsa_tg_split 0
		.amdhsa_exception_fp_ieee_invalid_op 0
		.amdhsa_exception_fp_denorm_src 0
		.amdhsa_exception_fp_ieee_div_zero 0
		.amdhsa_exception_fp_ieee_overflow 0
		.amdhsa_exception_fp_ieee_underflow 0
		.amdhsa_exception_fp_ieee_inexact 0
		.amdhsa_exception_int_div_zero 0
	.end_amdhsa_kernel
	.text
.Lfunc_end0:
	.size	fft_rtc_back_len110_factors_2_5_11_wgs_198_tpt_11_half_ip_CI_unitstride_sbrr_dirReg, .Lfunc_end0-fft_rtc_back_len110_factors_2_5_11_wgs_198_tpt_11_half_ip_CI_unitstride_sbrr_dirReg
                                        ; -- End function
	.section	.AMDGPU.csdata,"",@progbits
; Kernel info:
; codeLenInByte = 5524
; NumSgprs: 28
; NumVgprs: 94
; NumAgprs: 0
; TotalNumVgprs: 94
; ScratchSize: 0
; MemoryBound: 0
; FloatMode: 240
; IeeeMode: 1
; LDSByteSize: 0 bytes/workgroup (compile time only)
; SGPRBlocks: 3
; VGPRBlocks: 11
; NumSGPRsForWavesPerEU: 28
; NumVGPRsForWavesPerEU: 94
; AccumOffset: 96
; Occupancy: 5
; WaveLimiterHint : 1
; COMPUTE_PGM_RSRC2:SCRATCH_EN: 0
; COMPUTE_PGM_RSRC2:USER_SGPR: 2
; COMPUTE_PGM_RSRC2:TRAP_HANDLER: 0
; COMPUTE_PGM_RSRC2:TGID_X_EN: 1
; COMPUTE_PGM_RSRC2:TGID_Y_EN: 0
; COMPUTE_PGM_RSRC2:TGID_Z_EN: 0
; COMPUTE_PGM_RSRC2:TIDIG_COMP_CNT: 0
; COMPUTE_PGM_RSRC3_GFX90A:ACCUM_OFFSET: 23
; COMPUTE_PGM_RSRC3_GFX90A:TG_SPLIT: 0
	.text
	.p2alignl 6, 3212836864
	.fill 256, 4, 3212836864
	.type	__hip_cuid_5553eb0e20195fb2,@object ; @__hip_cuid_5553eb0e20195fb2
	.section	.bss,"aw",@nobits
	.globl	__hip_cuid_5553eb0e20195fb2
__hip_cuid_5553eb0e20195fb2:
	.byte	0                               ; 0x0
	.size	__hip_cuid_5553eb0e20195fb2, 1

	.ident	"AMD clang version 19.0.0git (https://github.com/RadeonOpenCompute/llvm-project roc-6.4.0 25133 c7fe45cf4b819c5991fe208aaa96edf142730f1d)"
	.section	".note.GNU-stack","",@progbits
	.addrsig
	.addrsig_sym __hip_cuid_5553eb0e20195fb2
	.amdgpu_metadata
---
amdhsa.kernels:
  - .agpr_count:     0
    .args:
      - .actual_access:  read_only
        .address_space:  global
        .offset:         0
        .size:           8
        .value_kind:     global_buffer
      - .offset:         8
        .size:           8
        .value_kind:     by_value
      - .actual_access:  read_only
        .address_space:  global
        .offset:         16
        .size:           8
        .value_kind:     global_buffer
      - .actual_access:  read_only
        .address_space:  global
        .offset:         24
        .size:           8
        .value_kind:     global_buffer
      - .offset:         32
        .size:           8
        .value_kind:     by_value
      - .actual_access:  read_only
        .address_space:  global
        .offset:         40
        .size:           8
        .value_kind:     global_buffer
      - .actual_access:  read_only
        .address_space:  global
        .offset:         48
        .size:           8
        .value_kind:     global_buffer
      - .offset:         56
        .size:           4
        .value_kind:     by_value
      - .actual_access:  read_only
        .address_space:  global
        .offset:         64
        .size:           8
        .value_kind:     global_buffer
      - .actual_access:  read_only
        .address_space:  global
        .offset:         72
        .size:           8
        .value_kind:     global_buffer
      - .address_space:  global
        .offset:         80
        .size:           8
        .value_kind:     global_buffer
    .group_segment_fixed_size: 0
    .kernarg_segment_align: 8
    .kernarg_segment_size: 88
    .language:       OpenCL C
    .language_version:
      - 2
      - 0
    .max_flat_workgroup_size: 198
    .name:           fft_rtc_back_len110_factors_2_5_11_wgs_198_tpt_11_half_ip_CI_unitstride_sbrr_dirReg
    .private_segment_fixed_size: 0
    .sgpr_count:     28
    .sgpr_spill_count: 0
    .symbol:         fft_rtc_back_len110_factors_2_5_11_wgs_198_tpt_11_half_ip_CI_unitstride_sbrr_dirReg.kd
    .uniform_work_group_size: 1
    .uses_dynamic_stack: false
    .vgpr_count:     94
    .vgpr_spill_count: 0
    .wavefront_size: 64
amdhsa.target:   amdgcn-amd-amdhsa--gfx950
amdhsa.version:
  - 1
  - 2
...

	.end_amdgpu_metadata
